;; amdgpu-corpus repo=ROCm/rocFFT kind=compiled arch=gfx1201 opt=O3
	.text
	.amdgcn_target "amdgcn-amd-amdhsa--gfx1201"
	.amdhsa_code_object_version 6
	.protected	fft_rtc_back_len336_factors_6_7_8_wgs_336_tpt_56_dp_op_CI_CI_sbcc_twdbase5_3step_dirReg_intrinsicReadWrite ; -- Begin function fft_rtc_back_len336_factors_6_7_8_wgs_336_tpt_56_dp_op_CI_CI_sbcc_twdbase5_3step_dirReg_intrinsicReadWrite
	.globl	fft_rtc_back_len336_factors_6_7_8_wgs_336_tpt_56_dp_op_CI_CI_sbcc_twdbase5_3step_dirReg_intrinsicReadWrite
	.p2align	8
	.type	fft_rtc_back_len336_factors_6_7_8_wgs_336_tpt_56_dp_op_CI_CI_sbcc_twdbase5_3step_dirReg_intrinsicReadWrite,@function
fft_rtc_back_len336_factors_6_7_8_wgs_336_tpt_56_dp_op_CI_CI_sbcc_twdbase5_3step_dirReg_intrinsicReadWrite: ; @fft_rtc_back_len336_factors_6_7_8_wgs_336_tpt_56_dp_op_CI_CI_sbcc_twdbase5_3step_dirReg_intrinsicReadWrite
; %bb.0:
	s_clause 0x1
	s_load_b256 s[4:11], s[0:1], 0x8
	s_load_b64 s[26:27], s[0:1], 0x28
	s_mov_b32 s30, ttmp9
	s_mov_b32 s2, exec_lo
	v_cmpx_gt_u32_e32 0x60, v0
	s_cbranch_execz .LBB0_2
; %bb.1:
	v_lshlrev_b32_e32 v5, 4, v0
	s_wait_kmcnt 0x0
	global_load_b128 v[1:4], v5, s[4:5]
	v_add3_u32 v5, 0, v5, 0x7e00
	s_wait_loadcnt 0x0
	ds_store_2addr_b64 v5, v[1:2], v[3:4] offset1:1
.LBB0_2:
	s_or_b32 exec_lo, exec_lo, s2
	s_mov_b32 s31, 0
	s_mov_b32 s2, 0xaaa80000
	s_movk_i32 s3, 0xaa
	s_wait_kmcnt 0x0
	s_mov_b32 s4, s31
	s_mov_b32 s5, s31
	s_load_b64 s[28:29], s[8:9], 0x8
	s_add_nc_u64 s[2:3], s[4:5], s[2:3]
	s_mov_b32 s15, s31
	s_add_co_i32 s3, s3, 0x2aaaaa00
	s_delay_alu instid0(SALU_CYCLE_1) | instskip(NEXT) | instid1(SALU_CYCLE_1)
	s_mul_u64 s[4:5], s[2:3], -6
	s_mul_hi_u32 s13, s2, s5
	s_mul_i32 s12, s2, s5
	s_mul_hi_u32 s14, s2, s4
	s_mul_hi_u32 s16, s3, s4
	s_mul_i32 s4, s3, s4
	s_add_nc_u64 s[12:13], s[14:15], s[12:13]
	s_mul_hi_u32 s14, s3, s5
	s_add_co_u32 s4, s12, s4
	s_add_co_ci_u32 s4, s13, s16
	s_add_co_ci_u32 s13, s14, 0
	s_mul_i32 s12, s3, s5
	s_mov_b32 s5, s31
	s_delay_alu instid0(SALU_CYCLE_1) | instskip(SKIP_3) | instid1(VALU_DEP_1)
	s_add_nc_u64 s[4:5], s[4:5], s[12:13]
	s_wait_kmcnt 0x0
	s_add_nc_u64 s[12:13], s[28:29], -1
	v_add_co_u32 v1, s2, s2, s4
	s_cmp_lg_u32 s2, 0
	s_add_co_ci_u32 s15, s3, s5
	s_delay_alu instid0(VALU_DEP_1) | instskip(SKIP_3) | instid1(VALU_DEP_1)
	v_readfirstlane_b32 s14, v1
	s_mul_hi_u32 s3, s12, s15
	s_mul_i32 s2, s12, s15
	s_mov_b32 s5, s31
	s_mul_hi_u32 s4, s12, s14
	s_wait_alu 0xfffe
	s_add_nc_u64 s[2:3], s[4:5], s[2:3]
	s_mul_i32 s5, s13, s14
	s_mul_hi_u32 s14, s13, s14
	s_mul_hi_u32 s4, s13, s15
	s_wait_alu 0xfffe
	s_add_co_u32 s2, s2, s5
	s_add_co_ci_u32 s2, s3, s14
	s_add_co_ci_u32 s5, s4, 0
	s_mul_i32 s4, s13, s15
	s_mov_b32 s3, s31
	s_wait_alu 0xfffe
	s_add_nc_u64 s[2:3], s[2:3], s[4:5]
	s_wait_alu 0xfffe
	s_mul_u64 s[4:5], s[2:3], 6
	s_wait_alu 0xfffe
	v_sub_co_u32 v1, s4, s12, s4
	s_delay_alu instid0(VALU_DEP_1) | instskip(SKIP_1) | instid1(VALU_DEP_1)
	s_cmp_lg_u32 s4, 0
	s_sub_co_ci_u32 s14, s13, s5
	v_sub_co_u32 v2, s12, v1, 6
	s_delay_alu instid0(VALU_DEP_1) | instskip(SKIP_2) | instid1(VALU_DEP_2)
	s_cmp_lg_u32 s12, 0
	v_readfirstlane_b32 s16, v1
	s_sub_co_ci_u32 s12, s14, 0
	v_readfirstlane_b32 s4, v2
	s_delay_alu instid0(VALU_DEP_1)
	s_cmp_gt_u32 s4, 5
	s_add_nc_u64 s[4:5], s[2:3], 1
	s_cselect_b32 s15, -1, 0
	s_wait_alu 0xfffe
	s_cmp_eq_u32 s12, 0
	s_add_nc_u64 s[12:13], s[2:3], 2
	s_cselect_b32 s15, s15, -1
	s_delay_alu instid0(SALU_CYCLE_1)
	s_cmp_lg_u32 s15, 0
	s_wait_alu 0xfffe
	s_cselect_b32 s4, s12, s4
	s_cselect_b32 s5, s13, s5
	s_cmp_gt_u32 s16, 5
	s_cselect_b32 s12, -1, 0
	s_cmp_eq_u32 s14, 0
	s_wait_alu 0xfffe
	s_cselect_b32 s12, s12, -1
	s_wait_alu 0xfffe
	s_cmp_lg_u32 s12, 0
	s_cselect_b32 s3, s5, s3
	s_cselect_b32 s2, s4, s2
	s_mov_b64 s[4:5], 0
	s_wait_alu 0xfffe
	s_add_nc_u64 s[34:35], s[2:3], 1
	s_delay_alu instid0(SALU_CYCLE_1) | instskip(NEXT) | instid1(VALU_DEP_1)
	v_cmp_lt_u64_e64 s2, s[30:31], s[34:35]
	s_and_b32 vcc_lo, exec_lo, s2
	s_cbranch_vccnz .LBB0_4
; %bb.3:
	v_cvt_f32_u32_e32 v1, s34
	s_sub_co_i32 s3, 0, s34
	s_delay_alu instid0(VALU_DEP_1) | instskip(NEXT) | instid1(TRANS32_DEP_1)
	v_rcp_iflag_f32_e32 v1, v1
	v_mul_f32_e32 v1, 0x4f7ffffe, v1
	s_delay_alu instid0(VALU_DEP_1) | instskip(NEXT) | instid1(VALU_DEP_1)
	v_cvt_u32_f32_e32 v1, v1
	v_readfirstlane_b32 s2, v1
	s_wait_alu 0xfffe
	s_delay_alu instid0(VALU_DEP_1)
	s_mul_i32 s3, s3, s2
	s_wait_alu 0xfffe
	s_mul_hi_u32 s3, s2, s3
	s_wait_alu 0xfffe
	s_add_co_i32 s2, s2, s3
	s_wait_alu 0xfffe
	s_mul_hi_u32 s2, s30, s2
	s_wait_alu 0xfffe
	s_mul_i32 s3, s2, s34
	s_add_co_i32 s4, s2, 1
	s_wait_alu 0xfffe
	s_sub_co_i32 s3, s30, s3
	s_wait_alu 0xfffe
	s_sub_co_i32 s5, s3, s34
	s_cmp_ge_u32 s3, s34
	s_cselect_b32 s2, s4, s2
	s_wait_alu 0xfffe
	s_cselect_b32 s3, s5, s3
	s_add_co_i32 s4, s2, 1
	s_wait_alu 0xfffe
	s_cmp_ge_u32 s3, s34
	s_mov_b32 s5, s31
	s_cselect_b32 s4, s4, s2
.LBB0_4:
	s_load_b128 s[20:23], s[10:11], 0x0
	s_load_b128 s[16:19], s[26:27], 0x0
	s_clause 0x1
	s_load_b128 s[12:15], s[0:1], 0x60
	s_load_b64 s[24:25], s[0:1], 0x0
	v_cmp_lt_u64_e64 s2, s[6:7], 3
	s_mul_u64 s[0:1], s[4:5], s[34:35]
	s_delay_alu instid0(SALU_CYCLE_1) | instskip(NEXT) | instid1(SALU_CYCLE_1)
	s_sub_nc_u64 s[0:1], s[30:31], s[0:1]
	s_mul_u64 s[36:37], s[0:1], 6
	s_delay_alu instid0(VALU_DEP_1)
	s_and_b32 vcc_lo, exec_lo, s2
	s_wait_kmcnt 0x0
	s_mul_u64 s[0:1], s[22:23], s[36:37]
	s_mul_u64 s[2:3], s[18:19], s[36:37]
	s_cbranch_vccnz .LBB0_14
; %bb.5:
	s_add_nc_u64 s[38:39], s[26:27], 16
	s_add_nc_u64 s[40:41], s[10:11], 16
	;; [unrolled: 1-line block ×3, first 2 shown]
	s_mov_b64 s[42:43], 2
	s_mov_b32 s44, 0
.LBB0_6:                                ; =>This Inner Loop Header: Depth=1
	s_load_b64 s[46:47], s[8:9], 0x0
                                        ; implicit-def: $sgpr50_sgpr51
	s_wait_kmcnt 0x0
	s_or_b64 s[48:49], s[4:5], s[46:47]
	s_delay_alu instid0(SALU_CYCLE_1)
	s_mov_b32 s45, s49
	s_mov_b32 s49, -1
	s_cmp_lg_u64 s[44:45], 0
	s_cbranch_scc0 .LBB0_8
; %bb.7:                                ;   in Loop: Header=BB0_6 Depth=1
	s_cvt_f32_u32 s17, s46
	s_cvt_f32_u32 s19, s47
	s_sub_nc_u64 s[52:53], 0, s[46:47]
	s_mov_b32 s49, 0
	s_mov_b32 s57, s44
	s_wait_alu 0xfffe
	s_fmamk_f32 s17, s19, 0x4f800000, s17
	s_wait_alu 0xfffe
	s_delay_alu instid0(SALU_CYCLE_2) | instskip(NEXT) | instid1(TRANS32_DEP_1)
	v_s_rcp_f32 s17, s17
	s_mul_f32 s17, s17, 0x5f7ffffc
	s_wait_alu 0xfffe
	s_delay_alu instid0(SALU_CYCLE_2) | instskip(NEXT) | instid1(SALU_CYCLE_3)
	s_mul_f32 s19, s17, 0x2f800000
	s_trunc_f32 s19, s19
	s_delay_alu instid0(SALU_CYCLE_3) | instskip(SKIP_2) | instid1(SALU_CYCLE_1)
	s_fmamk_f32 s17, s19, 0xcf800000, s17
	s_cvt_u32_f32 s51, s19
	s_wait_alu 0xfffe
	s_cvt_u32_f32 s50, s17
	s_wait_alu 0xfffe
	s_delay_alu instid0(SALU_CYCLE_2)
	s_mul_u64 s[54:55], s[52:53], s[50:51]
	s_wait_alu 0xfffe
	s_mul_hi_u32 s59, s50, s55
	s_mul_i32 s58, s50, s55
	s_mul_hi_u32 s48, s50, s54
	s_mul_i32 s19, s51, s54
	s_add_nc_u64 s[58:59], s[48:49], s[58:59]
	s_mul_hi_u32 s17, s51, s54
	s_mul_hi_u32 s21, s51, s55
	s_add_co_u32 s19, s58, s19
	s_wait_alu 0xfffe
	s_add_co_ci_u32 s56, s59, s17
	s_mul_i32 s54, s51, s55
	s_add_co_ci_u32 s55, s21, 0
	s_wait_alu 0xfffe
	s_add_nc_u64 s[54:55], s[56:57], s[54:55]
	s_wait_alu 0xfffe
	v_add_co_u32 v1, s17, s50, s54
	s_delay_alu instid0(VALU_DEP_1) | instskip(SKIP_1) | instid1(VALU_DEP_1)
	s_cmp_lg_u32 s17, 0
	s_add_co_ci_u32 s51, s51, s55
	v_readfirstlane_b32 s50, v1
	s_mov_b32 s55, s44
	s_wait_alu 0xfffe
	s_delay_alu instid0(VALU_DEP_1)
	s_mul_u64 s[52:53], s[52:53], s[50:51]
	s_wait_alu 0xfffe
	s_mul_hi_u32 s57, s50, s53
	s_mul_i32 s56, s50, s53
	s_mul_hi_u32 s48, s50, s52
	s_mul_i32 s19, s51, s52
	s_add_nc_u64 s[56:57], s[48:49], s[56:57]
	s_mul_hi_u32 s17, s51, s52
	s_mul_hi_u32 s21, s51, s53
	s_add_co_u32 s19, s56, s19
	s_wait_alu 0xfffe
	s_add_co_ci_u32 s54, s57, s17
	s_mul_i32 s52, s51, s53
	s_add_co_ci_u32 s53, s21, 0
	s_wait_alu 0xfffe
	s_add_nc_u64 s[52:53], s[54:55], s[52:53]
	s_wait_alu 0xfffe
	v_add_co_u32 v1, s17, v1, s52
	s_delay_alu instid0(VALU_DEP_1) | instskip(SKIP_1) | instid1(VALU_DEP_1)
	s_cmp_lg_u32 s17, 0
	s_add_co_ci_u32 s17, s51, s53
	v_readfirstlane_b32 s19, v1
	s_wait_alu 0xfffe
	s_mul_hi_u32 s51, s4, s17
	s_mul_i32 s50, s4, s17
	s_mul_hi_u32 s21, s5, s17
	s_mul_i32 s52, s5, s17
	;; [unrolled: 2-line block ×3, first 2 shown]
	s_wait_alu 0xfffe
	s_add_nc_u64 s[50:51], s[48:49], s[50:51]
	s_mul_hi_u32 s19, s5, s19
	s_wait_alu 0xfffe
	s_add_co_u32 s17, s50, s17
	s_add_co_ci_u32 s54, s51, s19
	s_add_co_ci_u32 s53, s21, 0
	s_wait_alu 0xfffe
	s_add_nc_u64 s[50:51], s[54:55], s[52:53]
	s_wait_alu 0xfffe
	s_mul_u64 s[52:53], s[46:47], s[50:51]
	s_add_nc_u64 s[54:55], s[50:51], 1
	s_wait_alu 0xfffe
	v_sub_co_u32 v1, s17, s4, s52
	s_sub_co_i32 s19, s5, s53
	s_cmp_lg_u32 s17, 0
	s_add_nc_u64 s[56:57], s[50:51], 2
	s_delay_alu instid0(VALU_DEP_1) | instskip(SKIP_2) | instid1(VALU_DEP_1)
	v_sub_co_u32 v2, s21, v1, s46
	s_sub_co_ci_u32 s19, s19, s47
	s_cmp_lg_u32 s21, 0
	v_readfirstlane_b32 s21, v2
	s_sub_co_ci_u32 s19, s19, 0
	s_delay_alu instid0(SALU_CYCLE_1) | instskip(SKIP_1) | instid1(VALU_DEP_1)
	s_cmp_ge_u32 s19, s47
	s_cselect_b32 s33, -1, 0
	s_cmp_ge_u32 s21, s46
	s_cselect_b32 s21, -1, 0
	s_cmp_eq_u32 s19, s47
	s_cselect_b32 s19, s21, s33
	s_delay_alu instid0(SALU_CYCLE_1)
	s_cmp_lg_u32 s19, 0
	s_cselect_b32 s19, s56, s54
	s_cselect_b32 s21, s57, s55
	s_cmp_lg_u32 s17, 0
	v_readfirstlane_b32 s17, v1
	s_sub_co_ci_u32 s33, s5, s53
	s_delay_alu instid0(SALU_CYCLE_1) | instskip(SKIP_1) | instid1(VALU_DEP_1)
	s_cmp_ge_u32 s33, s47
	s_cselect_b32 s45, -1, 0
	s_cmp_ge_u32 s17, s46
	s_cselect_b32 s17, -1, 0
	s_cmp_eq_u32 s33, s47
	s_wait_alu 0xfffe
	s_cselect_b32 s17, s17, s45
	s_wait_alu 0xfffe
	s_cmp_lg_u32 s17, 0
	s_cselect_b32 s51, s21, s51
	s_cselect_b32 s50, s19, s50
.LBB0_8:                                ;   in Loop: Header=BB0_6 Depth=1
	s_and_not1_b32 vcc_lo, exec_lo, s49
	s_cbranch_vccnz .LBB0_10
; %bb.9:                                ;   in Loop: Header=BB0_6 Depth=1
	v_cvt_f32_u32_e32 v1, s46
	s_sub_co_i32 s19, 0, s46
	s_mov_b32 s51, s44
	s_delay_alu instid0(VALU_DEP_1) | instskip(NEXT) | instid1(TRANS32_DEP_1)
	v_rcp_iflag_f32_e32 v1, v1
	v_mul_f32_e32 v1, 0x4f7ffffe, v1
	s_delay_alu instid0(VALU_DEP_1) | instskip(NEXT) | instid1(VALU_DEP_1)
	v_cvt_u32_f32_e32 v1, v1
	v_readfirstlane_b32 s17, v1
	s_delay_alu instid0(VALU_DEP_1) | instskip(NEXT) | instid1(SALU_CYCLE_1)
	s_mul_i32 s19, s19, s17
	s_mul_hi_u32 s19, s17, s19
	s_delay_alu instid0(SALU_CYCLE_1)
	s_add_co_i32 s17, s17, s19
	s_wait_alu 0xfffe
	s_mul_hi_u32 s17, s4, s17
	s_wait_alu 0xfffe
	s_mul_i32 s19, s17, s46
	s_add_co_i32 s21, s17, 1
	s_sub_co_i32 s19, s4, s19
	s_delay_alu instid0(SALU_CYCLE_1)
	s_sub_co_i32 s33, s19, s46
	s_cmp_ge_u32 s19, s46
	s_cselect_b32 s17, s21, s17
	s_cselect_b32 s19, s33, s19
	s_wait_alu 0xfffe
	s_add_co_i32 s21, s17, 1
	s_cmp_ge_u32 s19, s46
	s_cselect_b32 s50, s21, s17
.LBB0_10:                               ;   in Loop: Header=BB0_6 Depth=1
	s_load_b64 s[48:49], s[40:41], 0x0
	s_load_b64 s[52:53], s[38:39], 0x0
	s_add_nc_u64 s[42:43], s[42:43], 1
	s_mul_u64 s[34:35], s[46:47], s[34:35]
	s_wait_alu 0xfffe
	v_cmp_ge_u64_e64 s17, s[42:43], s[6:7]
	s_mul_u64 s[46:47], s[50:51], s[46:47]
	s_add_nc_u64 s[38:39], s[38:39], 8
	s_wait_alu 0xfffe
	s_sub_nc_u64 s[4:5], s[4:5], s[46:47]
	s_add_nc_u64 s[40:41], s[40:41], 8
	s_add_nc_u64 s[8:9], s[8:9], 8
	s_and_b32 vcc_lo, exec_lo, s17
	s_wait_kmcnt 0x0
	s_wait_alu 0xfffe
	s_mul_u64 s[46:47], s[48:49], s[4:5]
	s_mul_u64 s[4:5], s[52:53], s[4:5]
	s_wait_alu 0xfffe
	s_add_nc_u64 s[0:1], s[46:47], s[0:1]
	s_add_nc_u64 s[2:3], s[4:5], s[2:3]
	s_cbranch_vccnz .LBB0_12
; %bb.11:                               ;   in Loop: Header=BB0_6 Depth=1
	s_mov_b64 s[4:5], s[50:51]
	s_branch .LBB0_6
.LBB0_12:
	v_cmp_lt_u64_e64 s3, s[30:31], s[34:35]
	s_mov_b64 s[4:5], 0
	s_wait_alu 0xfffe
	s_delay_alu instid0(VALU_DEP_1)
	s_and_b32 vcc_lo, exec_lo, s3
	s_cbranch_vccnz .LBB0_14
; %bb.13:
	v_cvt_f32_u32_e32 v1, s34
	s_sub_co_i32 s4, 0, s34
	s_delay_alu instid0(VALU_DEP_1) | instskip(NEXT) | instid1(TRANS32_DEP_1)
	v_rcp_iflag_f32_e32 v1, v1
	v_mul_f32_e32 v1, 0x4f7ffffe, v1
	s_delay_alu instid0(VALU_DEP_1) | instskip(NEXT) | instid1(VALU_DEP_1)
	v_cvt_u32_f32_e32 v1, v1
	v_readfirstlane_b32 s3, v1
	s_wait_alu 0xfffe
	s_delay_alu instid0(VALU_DEP_1)
	s_mul_i32 s4, s4, s3
	s_wait_alu 0xfffe
	s_mul_hi_u32 s4, s3, s4
	s_wait_alu 0xfffe
	s_add_co_i32 s3, s3, s4
	s_wait_alu 0xfffe
	s_mul_hi_u32 s3, s30, s3
	s_wait_alu 0xfffe
	s_mul_i32 s4, s3, s34
	s_add_co_i32 s5, s3, 1
	s_wait_alu 0xfffe
	s_sub_co_i32 s4, s30, s4
	s_wait_alu 0xfffe
	s_sub_co_i32 s8, s4, s34
	s_cmp_ge_u32 s4, s34
	s_cselect_b32 s3, s5, s3
	s_cselect_b32 s4, s8, s4
	s_wait_alu 0xfffe
	s_add_co_i32 s8, s3, 1
	s_cmp_ge_u32 s4, s34
	s_mov_b32 s5, 0
	s_cselect_b32 s4, s8, s3
.LBB0_14:
	v_mul_hi_u32 v36, 0x2aaaaaab, v0
	s_lshl_b64 s[6:7], s[6:7], 3
	v_mov_b32_e32 v3, 0
	s_wait_alu 0xfffe
	s_add_nc_u64 s[8:9], s[10:11], s[6:7]
	s_add_nc_u64 s[10:11], s[36:37], 6
	s_load_b64 s[8:9], s[8:9], 0x0
	s_delay_alu instid0(VALU_DEP_2) | instskip(NEXT) | instid1(VALU_DEP_1)
	v_mul_u32_u24_e32 v1, 6, v36
	v_sub_nc_u32_e32 v35, v0, v1
	s_delay_alu instid0(VALU_DEP_1)
	v_mad_co_u64_u32 v[25:26], null, s22, v35, 0
	v_add_co_u32 v33, s3, s36, v35
	s_wait_alu 0xf1ff
	v_add_co_ci_u32_e64 v34, null, s37, 0, s3
	v_mov_b32_e32 v4, 0
	v_cmp_le_u64_e64 s3, s[10:11], s[28:29]
	v_mov_b32_e32 v1, v26
	s_delay_alu instid0(VALU_DEP_4)
	v_cmp_gt_u64_e32 vcc_lo, s[28:29], v[33:34]
	s_wait_kmcnt 0x0
	s_mul_u64 s[8:9], s[8:9], s[4:5]
	v_dual_mov_b32 v8, v4 :: v_dual_mov_b32 v7, v3
	v_mad_co_u64_u32 v[1:2], null, s23, v35, v[1:2]
	v_mov_b32_e32 v2, 0
	v_dual_mov_b32 v6, v4 :: v_dual_mov_b32 v5, v3
	s_add_nc_u64 s[8:9], s[8:9], s[0:1]
	s_or_b32 s1, s3, vcc_lo
	s_delay_alu instid0(SALU_CYCLE_1)
	s_and_saveexec_b32 s5, s1
	s_cbranch_execz .LBB0_16
; %bb.15:
	v_mul_lo_u32 v1, s20, v36
	s_delay_alu instid0(VALU_DEP_1) | instskip(NEXT) | instid1(VALU_DEP_1)
	v_add3_u32 v1, s8, v25, v1
	v_lshlrev_b64_e32 v[1:2], 4, v[1:2]
	s_delay_alu instid0(VALU_DEP_1) | instskip(NEXT) | instid1(VALU_DEP_1)
	v_add_co_u32 v1, s0, s12, v1
	v_add_co_ci_u32_e64 v2, s0, s13, v2, s0
	global_load_b128 v[5:8], v[1:2], off
.LBB0_16:
	s_wait_alu 0xfffe
	s_or_b32 exec_lo, exec_lo, s5
	v_dual_mov_b32 v1, v3 :: v_dual_mov_b32 v2, v4
	s_and_saveexec_b32 s5, s1
	s_cbranch_execz .LBB0_18
; %bb.17:
	v_dual_mov_b32 v2, 0 :: v_dual_add_nc_u32 v1, 56, v36
	s_delay_alu instid0(VALU_DEP_1) | instskip(NEXT) | instid1(VALU_DEP_1)
	v_mul_lo_u32 v1, s20, v1
	v_add3_u32 v1, s8, v25, v1
	s_delay_alu instid0(VALU_DEP_1) | instskip(NEXT) | instid1(VALU_DEP_1)
	v_lshlrev_b64_e32 v[1:2], 4, v[1:2]
	v_add_co_u32 v1, s0, s12, v1
	s_wait_alu 0xf1ff
	s_delay_alu instid0(VALU_DEP_2)
	v_add_co_ci_u32_e64 v2, s0, s13, v2, s0
	global_load_b128 v[1:4], v[1:2], off
.LBB0_18:
	s_wait_alu 0xfffe
	s_or_b32 exec_lo, exec_lo, s5
	v_mov_b32_e32 v15, 0
	v_mov_b32_e32 v16, 0
	s_delay_alu instid0(VALU_DEP_2) | instskip(NEXT) | instid1(VALU_DEP_2)
	v_mov_b32_e32 v11, v15
	v_dual_mov_b32 v9, v15 :: v_dual_mov_b32 v10, v16
	v_mov_b32_e32 v12, v16
	s_and_saveexec_b32 s5, s1
	s_cbranch_execz .LBB0_20
; %bb.19:
	v_dual_mov_b32 v10, 0 :: v_dual_add_nc_u32 v9, 0x70, v36
	s_delay_alu instid0(VALU_DEP_1) | instskip(NEXT) | instid1(VALU_DEP_1)
	v_mul_lo_u32 v9, s20, v9
	v_add3_u32 v9, s8, v25, v9
	s_delay_alu instid0(VALU_DEP_1) | instskip(NEXT) | instid1(VALU_DEP_1)
	v_lshlrev_b64_e32 v[9:10], 4, v[9:10]
	v_add_co_u32 v9, s0, s12, v9
	s_wait_alu 0xf1ff
	s_delay_alu instid0(VALU_DEP_2)
	v_add_co_ci_u32_e64 v10, s0, s13, v10, s0
	global_load_b128 v[9:12], v[9:10], off
.LBB0_20:
	s_wait_alu 0xfffe
	s_or_b32 exec_lo, exec_lo, s5
	v_dual_mov_b32 v13, v15 :: v_dual_mov_b32 v14, v16
	s_and_saveexec_b32 s5, s1
	s_cbranch_execz .LBB0_22
; %bb.21:
	v_dual_mov_b32 v14, 0 :: v_dual_add_nc_u32 v13, 0xa8, v36
	s_delay_alu instid0(VALU_DEP_1) | instskip(NEXT) | instid1(VALU_DEP_1)
	v_mul_lo_u32 v13, s20, v13
	v_add3_u32 v13, s8, v25, v13
	s_delay_alu instid0(VALU_DEP_1) | instskip(NEXT) | instid1(VALU_DEP_1)
	v_lshlrev_b64_e32 v[13:14], 4, v[13:14]
	v_add_co_u32 v13, s0, s12, v13
	s_wait_alu 0xf1ff
	s_delay_alu instid0(VALU_DEP_2)
	v_add_co_ci_u32_e64 v14, s0, s13, v14, s0
	global_load_b128 v[13:16], v[13:14], off
.LBB0_22:
	s_wait_alu 0xfffe
	s_or_b32 exec_lo, exec_lo, s5
	v_mov_b32_e32 v19, 0
	v_mov_b32_e32 v20, 0
	s_delay_alu instid0(VALU_DEP_1)
	v_dual_mov_b32 v24, v20 :: v_dual_mov_b32 v23, v19
	v_dual_mov_b32 v22, v20 :: v_dual_mov_b32 v21, v19
	s_and_saveexec_b32 s5, s1
	s_cbranch_execz .LBB0_24
; %bb.23:
	v_dual_mov_b32 v18, 0 :: v_dual_add_nc_u32 v17, 0xe0, v36
	s_delay_alu instid0(VALU_DEP_1) | instskip(NEXT) | instid1(VALU_DEP_1)
	v_mul_lo_u32 v17, s20, v17
	v_add3_u32 v17, s8, v25, v17
	s_delay_alu instid0(VALU_DEP_1) | instskip(NEXT) | instid1(VALU_DEP_1)
	v_lshlrev_b64_e32 v[17:18], 4, v[17:18]
	v_add_co_u32 v17, s0, s12, v17
	s_wait_alu 0xf1ff
	s_delay_alu instid0(VALU_DEP_2)
	v_add_co_ci_u32_e64 v18, s0, s13, v18, s0
	global_load_b128 v[21:24], v[17:18], off
.LBB0_24:
	s_wait_alu 0xfffe
	s_or_b32 exec_lo, exec_lo, s5
	v_dual_mov_b32 v17, v19 :: v_dual_mov_b32 v18, v20
	s_add_nc_u64 s[6:7], s[26:27], s[6:7]
	s_and_saveexec_b32 s5, s1
	s_cbranch_execz .LBB0_26
; %bb.25:
	v_dual_mov_b32 v18, 0 :: v_dual_add_nc_u32 v17, 0x118, v36
	s_delay_alu instid0(VALU_DEP_1) | instskip(NEXT) | instid1(VALU_DEP_1)
	v_mul_lo_u32 v17, s20, v17
	v_add3_u32 v17, s8, v25, v17
	s_delay_alu instid0(VALU_DEP_1) | instskip(NEXT) | instid1(VALU_DEP_1)
	v_lshlrev_b64_e32 v[17:18], 4, v[17:18]
	v_add_co_u32 v17, s0, s12, v17
	s_wait_alu 0xf1ff
	s_delay_alu instid0(VALU_DEP_2)
	v_add_co_ci_u32_e64 v18, s0, s13, v18, s0
	global_load_b128 v[17:20], v[17:18], off
.LBB0_26:
	s_wait_alu 0xfffe
	s_or_b32 exec_lo, exec_lo, s5
	s_wait_loadcnt 0x0
	v_add_f64_e32 v[25:26], v[15:16], v[19:20]
	v_add_f64_e32 v[27:28], v[13:14], v[17:18]
	v_add_f64_e64 v[29:30], v[13:14], -v[17:18]
	v_add_f64_e64 v[31:32], v[15:16], -v[19:20]
	s_mov_b32 s0, 0xe8584caa
	s_mov_b32 s1, 0xbfebb67a
	s_mov_b32 s9, 0x3febb67a
	s_wait_alu 0xfffe
	s_mov_b32 s8, s0
	v_add_f64_e32 v[37:38], v[9:10], v[21:22]
	v_add_f64_e32 v[39:40], v[11:12], v[23:24]
	;; [unrolled: 1-line block ×3, first 2 shown]
	v_add_f64_e64 v[45:46], v[11:12], -v[23:24]
	v_add_f64_e32 v[11:12], v[7:8], v[11:12]
	v_add_f64_e64 v[9:10], v[9:10], -v[21:22]
	s_load_b64 s[6:7], s[6:7], 0x0
	v_fma_f64 v[25:26], v[25:26], -0.5, v[3:4]
	v_fma_f64 v[27:28], v[27:28], -0.5, v[1:2]
	v_add_f64_e32 v[1:2], v[1:2], v[13:14]
	v_add_f64_e32 v[3:4], v[3:4], v[15:16]
	v_fma_f64 v[5:6], v[37:38], -0.5, v[5:6]
	v_fma_f64 v[7:8], v[39:40], -0.5, v[7:8]
	v_add_f64_e32 v[21:22], v[43:44], v[21:22]
	v_add_f64_e32 v[11:12], v[11:12], v[23:24]
	v_fma_f64 v[41:42], v[29:30], s[8:9], v[25:26]
	v_fma_f64 v[25:26], v[29:30], s[0:1], v[25:26]
	;; [unrolled: 1-line block ×4, first 2 shown]
	v_add_f64_e32 v[17:18], v[1:2], v[17:18]
	v_add_f64_e32 v[19:20], v[3:4], v[19:20]
	v_fma_f64 v[23:24], v[45:46], s[0:1], v[5:6]
	v_fma_f64 v[37:38], v[45:46], s[8:9], v[5:6]
	;; [unrolled: 1-line block ×4, first 2 shown]
	v_mul_f64_e32 v[15:16], s[0:1], v[41:42]
	v_mul_f64_e32 v[27:28], s[0:1], v[25:26]
	;; [unrolled: 1-line block ×3, first 2 shown]
	v_mul_f64_e32 v[25:26], -0.5, v[25:26]
	v_add_f64_e32 v[1:2], v[21:22], v[17:18]
	v_add_f64_e32 v[3:4], v[11:12], v[19:20]
	v_add_f64_e64 v[9:10], v[21:22], -v[17:18]
	v_add_f64_e64 v[11:12], v[11:12], -v[19:20]
	v_cmp_gt_u32_e64 s0, 0x120, v0
	v_fma_f64 v[29:30], v[29:30], 0.5, v[15:16]
	v_fma_f64 v[27:28], v[13:14], -0.5, v[27:28]
	v_fma_f64 v[31:32], v[41:42], 0.5, v[31:32]
	v_fma_f64 v[25:26], v[13:14], s[8:9], v[25:26]
	s_delay_alu instid0(VALU_DEP_4) | instskip(NEXT) | instid1(VALU_DEP_4)
	v_add_f64_e32 v[5:6], v[23:24], v[29:30]
	v_add_f64_e32 v[13:14], v[37:38], v[27:28]
	s_delay_alu instid0(VALU_DEP_4) | instskip(NEXT) | instid1(VALU_DEP_4)
	v_add_f64_e32 v[7:8], v[39:40], v[31:32]
	v_add_f64_e32 v[15:16], v[43:44], v[25:26]
	v_add_f64_e64 v[17:18], v[23:24], -v[29:30]
	v_add_f64_e64 v[21:22], v[37:38], -v[27:28]
	v_add_f64_e64 v[19:20], v[39:40], -v[31:32]
	v_add_f64_e64 v[23:24], v[43:44], -v[25:26]
	v_mad_u32_u24 v25, 0x240, v36, 0
	v_lshlrev_b32_e32 v29, 4, v35
                                        ; implicit-def: $vgpr27_vgpr28
	s_delay_alu instid0(VALU_DEP_2)
	v_lshl_add_u32 v26, v35, 4, v25
	ds_store_b128 v26, v[1:4]
	ds_store_b128 v26, v[5:8] offset:96
	ds_store_b128 v26, v[13:16] offset:192
	;; [unrolled: 1-line block ×5, first 2 shown]
	global_wb scope:SCOPE_SE
	s_wait_dscnt 0x0
	s_wait_kmcnt 0x0
	s_barrier_signal -1
	s_barrier_wait -1
	global_inv scope:SCOPE_SE
	s_and_saveexec_b32 s1, s0
	s_cbranch_execz .LBB0_28
; %bb.27:
	v_mul_i32_i24_e32 v1, 0xfffffe20, v36
	s_delay_alu instid0(VALU_DEP_1)
	v_add3_u32 v25, v25, v1, v29
	ds_load_b128 v[1:4], v25
	ds_load_b128 v[5:8], v25 offset:4608
	ds_load_b128 v[13:16], v25 offset:9216
	ds_load_b128 v[9:12], v25 offset:13824
	ds_load_b128 v[17:20], v25 offset:18432
	ds_load_b128 v[21:24], v25 offset:23040
	ds_load_b128 v[25:28], v25 offset:27648
.LBB0_28:
	s_wait_alu 0xfffe
	s_or_b32 exec_lo, exec_lo, s1
	v_mul_hi_u32 v30, 0x2aaaaaab, v36
	s_mov_b32 s8, 0x37e14327
	s_mov_b32 s9, 0x3fe948f6
	;; [unrolled: 1-line block ×7, first 2 shown]
	v_mul_u32_u24_e32 v30, 6, v30
	s_mov_b32 s20, 0x5476071b
	s_mov_b32 s23, 0xbfd5d0dc
	;; [unrolled: 1-line block ×3, first 2 shown]
	s_delay_alu instid0(VALU_DEP_1) | instskip(NEXT) | instid1(VALU_DEP_1)
	v_sub_nc_u32_e32 v30, v36, v30
	v_mul_u32_u24_e32 v31, 6, v30
	s_delay_alu instid0(VALU_DEP_1)
	v_lshlrev_b32_e32 v31, 4, v31
	s_clause 0x5
	global_load_b128 v[37:40], v31, s[24:25]
	global_load_b128 v[41:44], v31, s[24:25] offset:16
	global_load_b128 v[45:48], v31, s[24:25] offset:80
	;; [unrolled: 1-line block ×5, first 2 shown]
	global_wb scope:SCOPE_SE
	s_wait_loadcnt_dscnt 0x0
	s_barrier_signal -1
	s_barrier_wait -1
	global_inv scope:SCOPE_SE
	v_mul_f64_e32 v[31:32], v[7:8], v[39:40]
	v_mul_f64_e32 v[39:40], v[5:6], v[39:40]
	;; [unrolled: 1-line block ×12, first 2 shown]
	v_fma_f64 v[5:6], v[5:6], v[37:38], v[31:32]
	v_fma_f64 v[7:8], v[7:8], v[37:38], -v[39:40]
	v_fma_f64 v[13:14], v[13:14], v[41:42], v[61:62]
	v_fma_f64 v[15:16], v[15:16], v[41:42], -v[43:44]
	v_fma_f64 v[25:26], v[25:26], v[45:46], v[63:64]
	v_fma_f64 v[27:28], v[27:28], v[45:46], -v[47:48]
	v_fma_f64 v[21:22], v[21:22], v[49:50], v[65:66]
	v_fma_f64 v[23:24], v[23:24], v[49:50], -v[51:52]
	v_fma_f64 v[9:10], v[9:10], v[53:54], v[67:68]
	v_fma_f64 v[11:12], v[11:12], v[53:54], -v[55:56]
	v_fma_f64 v[17:18], v[17:18], v[57:58], v[69:70]
	v_fma_f64 v[19:20], v[19:20], v[57:58], -v[59:60]
	v_add_f64_e32 v[31:32], v[5:6], v[25:26]
	v_add_f64_e32 v[37:38], v[7:8], v[27:28]
	;; [unrolled: 1-line block ×4, first 2 shown]
	v_add_f64_e64 v[13:14], v[13:14], -v[21:22]
	v_add_f64_e64 v[15:16], v[15:16], -v[23:24]
	v_add_f64_e32 v[43:44], v[9:10], v[17:18]
	v_add_f64_e32 v[45:46], v[11:12], v[19:20]
	v_add_f64_e64 v[9:10], v[17:18], -v[9:10]
	v_add_f64_e64 v[11:12], v[19:20], -v[11:12]
	;; [unrolled: 1-line block ×4, first 2 shown]
	v_add_f64_e32 v[17:18], v[39:40], v[31:32]
	v_add_f64_e32 v[19:20], v[41:42], v[37:38]
	v_add_f64_e64 v[21:22], v[31:32], -v[43:44]
	v_add_f64_e64 v[23:24], v[37:38], -v[45:46]
	;; [unrolled: 1-line block ×10, first 2 shown]
	v_add_f64_e32 v[13:14], v[9:10], v[13:14]
	v_add_f64_e32 v[15:16], v[11:12], v[15:16]
	v_add_f64_e64 v[9:10], v[5:6], -v[9:10]
	v_add_f64_e64 v[11:12], v[7:8], -v[11:12]
	v_add_f64_e32 v[17:18], v[43:44], v[17:18]
	v_add_f64_e32 v[19:20], v[45:46], v[19:20]
	s_wait_alu 0xfffe
	v_mul_f64_e32 v[21:22], s[8:9], v[21:22]
	v_mul_f64_e32 v[23:24], s[8:9], v[23:24]
	s_mov_b32 s8, 0x429ad128
	v_mul_f64_e32 v[39:40], s[10:11], v[25:26]
	v_mul_f64_e32 v[41:42], s[10:11], v[27:28]
	;; [unrolled: 1-line block ×4, first 2 shown]
	s_mov_b32 s9, 0xbfebfeb5
	s_mov_b32 s12, 0xaaaaaaaa
	s_wait_alu 0xfffe
	v_mul_f64_e32 v[47:48], s[8:9], v[51:52]
	v_mul_f64_e32 v[49:50], s[8:9], v[53:54]
	s_mov_b32 s13, 0xbff2aaaa
	v_add_f64_e32 v[5:6], v[13:14], v[5:6]
	v_add_f64_e32 v[7:8], v[15:16], v[7:8]
	v_add_f64_e32 v[1:2], v[1:2], v[17:18]
	v_add_f64_e32 v[3:4], v[3:4], v[19:20]
	v_fma_f64 v[13:14], v[25:26], s[10:11], v[21:22]
	v_fma_f64 v[15:16], v[27:28], s[10:11], v[23:24]
	v_fma_f64 v[25:26], v[31:32], s[20:21], -v[39:40]
	v_fma_f64 v[27:28], v[37:38], s[20:21], -v[41:42]
	s_mov_b32 s21, 0xbfe77f67
	v_fma_f64 v[39:40], v[9:10], s[22:23], v[43:44]
	v_fma_f64 v[41:42], v[11:12], s[22:23], v[45:46]
	s_mov_b32 s23, 0x3fd5d0dc
	v_fma_f64 v[43:44], v[51:52], s[8:9], -v[43:44]
	v_fma_f64 v[45:46], v[53:54], s[8:9], -v[45:46]
	s_wait_alu 0xfffe
	v_fma_f64 v[9:10], v[9:10], s[22:23], -v[47:48]
	v_fma_f64 v[11:12], v[11:12], s[22:23], -v[49:50]
	;; [unrolled: 1-line block ×4, first 2 shown]
	s_mov_b32 s8, 0x37c3f68c
	s_mov_b32 s9, 0xbfdc38aa
	v_fma_f64 v[17:18], v[17:18], s[12:13], v[1:2]
	v_fma_f64 v[19:20], v[19:20], s[12:13], v[3:4]
	s_wait_alu 0xfffe
	v_fma_f64 v[31:32], v[5:6], s[8:9], v[39:40]
	v_fma_f64 v[37:38], v[7:8], s[8:9], v[41:42]
	;; [unrolled: 1-line block ×6, first 2 shown]
	v_add_f64_e32 v[47:48], v[13:14], v[17:18]
	v_add_f64_e32 v[49:50], v[15:16], v[19:20]
	v_add_f64_e32 v[21:22], v[21:22], v[17:18]
	v_add_f64_e32 v[23:24], v[23:24], v[19:20]
	v_add_f64_e32 v[17:18], v[25:26], v[17:18]
	v_add_f64_e32 v[19:20], v[27:28], v[19:20]
	v_add_f64_e32 v[9:10], v[37:38], v[47:48]
	v_add_f64_e64 v[11:12], v[49:50], -v[31:32]
	v_add_f64_e32 v[5:6], v[45:46], v[21:22]
	v_add_f64_e64 v[7:8], v[23:24], -v[43:44]
	v_add_f64_e64 v[13:14], v[17:18], -v[41:42]
	v_add_f64_e32 v[15:16], v[39:40], v[19:20]
	v_add_f64_e32 v[17:18], v[41:42], v[17:18]
	v_add_f64_e64 v[19:20], v[19:20], -v[39:40]
	v_add_f64_e64 v[25:26], v[21:22], -v[45:46]
	v_add_f64_e32 v[27:28], v[43:44], v[23:24]
	v_add_f64_e64 v[21:22], v[47:48], -v[37:38]
	v_add_f64_e32 v[23:24], v[31:32], v[49:50]
	s_and_saveexec_b32 s1, s0
	s_cbranch_execz .LBB0_30
; %bb.29:
	v_mul_lo_u16 v31, v36, 43
	s_delay_alu instid0(VALU_DEP_1) | instskip(NEXT) | instid1(VALU_DEP_1)
	v_lshrrev_b16 v31, 8, v31
	v_and_b32_e32 v31, 0xffff, v31
	s_delay_alu instid0(VALU_DEP_1) | instskip(NEXT) | instid1(VALU_DEP_1)
	v_mad_u32_u24 v30, v31, 42, v30
	v_mul_i32_i24_e32 v30, 0x60, v30
	s_delay_alu instid0(VALU_DEP_1)
	v_add3_u32 v30, 0, v30, v29
	ds_store_b128 v30, v[1:4]
	ds_store_b128 v30, v[9:12] offset:576
	ds_store_b128 v30, v[5:8] offset:1152
	;; [unrolled: 1-line block ×6, first 2 shown]
.LBB0_30:
	s_wait_alu 0xfffe
	s_or_b32 exec_lo, exec_lo, s1
	s_delay_alu instid0(SALU_CYCLE_1)
	s_mov_b32 s1, exec_lo
	global_wb scope:SCOPE_SE
	s_wait_dscnt 0x0
	s_barrier_signal -1
	s_barrier_wait -1
	global_inv scope:SCOPE_SE
                                        ; implicit-def: $vgpr31_vgpr32
	v_cmpx_gt_u32_e32 0xfc, v0
	s_cbranch_execz .LBB0_32
; %bb.31:
	v_mul_u32_u24_e32 v1, 0x60, v36
	s_delay_alu instid0(VALU_DEP_1)
	v_add3_u32 v29, 0, v1, v29
	ds_load_b128 v[1:4], v29
	ds_load_b128 v[9:12], v29 offset:4032
	ds_load_b128 v[5:8], v29 offset:8064
	;; [unrolled: 1-line block ×7, first 2 shown]
.LBB0_32:
	s_wait_alu 0xfffe
	s_or_b32 exec_lo, exec_lo, s1
	v_cmp_gt_u32_e64 s1, 0xfc, v0
	v_cmp_lt_u32_e64 s0, 0xfb, v0
	v_cndmask_b32_e64 v37, 0, 1, vcc_lo
	s_wait_alu 0xf1ff
	s_delay_alu instid0(VALU_DEP_3) | instskip(NEXT) | instid1(VALU_DEP_3)
	v_cndmask_b32_e64 v34, 0, 1, s1
	s_or_b32 vcc_lo, s0, s3
	s_mov_b32 s0, exec_lo
	s_wait_alu 0xfffe
	s_delay_alu instid0(VALU_DEP_1) | instskip(NEXT) | instid1(VALU_DEP_1)
	v_cndmask_b32_e32 v34, v37, v34, vcc_lo
	v_and_b32_e32 v34, 1, v34
	s_delay_alu instid0(VALU_DEP_1)
	v_cmpx_eq_u32_e32 1, v34
	s_cbranch_execz .LBB0_34
; %bb.33:
	v_mul_hi_u32 v34, 0x6186187, v36
	s_add_co_i32 s0, 0, 0x7e00
	s_mov_b32 s8, 0x667f3bcd
	s_mov_b32 s9, 0x3fe6a09e
	;; [unrolled: 1-line block ×3, first 2 shown]
	s_wait_alu 0xfffe
	s_mov_b32 s10, s8
	v_mul_hi_u32 v0, 0x1041042, v0
	v_mul_lo_u32 v98, s18, v35
	v_mul_u32_u24_e32 v34, 42, v34
	s_delay_alu instid0(VALU_DEP_1) | instskip(NEXT) | instid1(VALU_DEP_1)
	v_sub_nc_u32_e32 v34, v36, v34
	v_add_nc_u32_e32 v36, 0x126, v34
	v_mul_lo_u32 v88, v34, v33
	v_mad_u32_u24 v94, 0x150, v0, v34
	s_delay_alu instid0(VALU_DEP_3) | instskip(SKIP_1) | instid1(VALU_DEP_3)
	v_mul_lo_u32 v90, v36, v33
	v_mul_lo_u32 v33, 0xffffffd6, v33
	;; [unrolled: 1-line block ×3, first 2 shown]
	v_add_nc_u32_e32 v95, 0x7e, v94
	v_lshrrev_b32_e32 v36, 1, v88
	v_and_b32_e32 v38, 31, v88
	v_add_nc_u32_e32 v96, 0xa8, v94
	v_lshrrev_b32_e32 v37, 1, v90
	v_and_b32_e32 v39, 31, v90
	v_and_b32_e32 v36, 0x1f0, v36
	v_lshl_add_u32 v38, v38, 4, 0
	v_add_nc_u32_e32 v52, v90, v33
	v_and_b32_e32 v37, 0x1f0, v37
	v_lshl_add_u32 v44, v39, 4, 0
	v_add_nc_u32_e32 v40, s0, v36
	s_delay_alu instid0(VALU_DEP_4) | instskip(NEXT) | instid1(VALU_DEP_4)
	v_lshrrev_b32_e32 v53, 6, v52
	v_add_nc_u32_e32 v48, s0, v37
	ds_load_b128 v[36:39], v38 offset:32256
	ds_load_b128 v[40:43], v40 offset:512
	v_lshrrev_b32_e32 v54, 1, v52
	v_add_nc_u32_e32 v91, v52, v33
	ds_load_b128 v[44:47], v44 offset:32256
	ds_load_b128 v[48:51], v48 offset:512
	v_and_b32_e32 v53, 0x1f0, v53
	v_and_b32_e32 v55, 31, v52
	v_and_b32_e32 v52, 0x1f0, v54
	v_lshrrev_b32_e32 v64, 1, v91
	v_and_b32_e32 v65, 31, v91
	v_add_nc_u32_e32 v53, s0, v53
	v_lshl_add_u32 v56, v55, 4, 0
	v_add_nc_u32_e32 v60, s0, v52
	v_and_b32_e32 v64, 0x1f0, v64
	v_lshl_add_u32 v65, v65, 4, 0
	ds_load_b128 v[52:55], v53 offset:1024
	ds_load_b128 v[56:59], v56 offset:32256
	;; [unrolled: 1-line block ×3, first 2 shown]
	v_add_nc_u32_e32 v86, v91, v33
	v_add_nc_u32_e32 v68, s0, v64
	ds_load_b128 v[64:67], v65 offset:32256
	ds_load_b128 v[68:71], v68 offset:512
	s_wait_dscnt 0x7
	v_mul_f64_e32 v[72:73], v[38:39], v[42:43]
	v_mul_f64_e32 v[42:43], v[36:37], v[42:43]
	s_wait_dscnt 0x5
	v_mul_f64_e32 v[76:77], v[46:47], v[50:51]
	v_mul_f64_e32 v[50:51], v[44:45], v[50:51]
	v_lshrrev_b32_e32 v74, 6, v86
	v_lshrrev_b32_e32 v75, 1, v86
	v_and_b32_e32 v80, 31, v86
	v_add_nc_u32_e32 v92, v86, v33
	s_delay_alu instid0(VALU_DEP_4) | instskip(NEXT) | instid1(VALU_DEP_4)
	v_and_b32_e32 v74, 0x1f0, v74
	v_and_b32_e32 v75, 0x1f0, v75
	s_delay_alu instid0(VALU_DEP_4) | instskip(NEXT) | instid1(VALU_DEP_4)
	v_lshl_add_u32 v84, v80, 4, 0
	v_add_nc_u32_e32 v86, v92, v33
	s_wait_dscnt 0x2
	v_mul_f64_e32 v[78:79], v[58:59], v[62:63]
	v_add_nc_u32_e32 v74, s0, v74
	v_add_nc_u32_e32 v75, s0, v75
	v_mul_f64_e32 v[62:63], v[56:57], v[62:63]
	v_add_nc_u32_e32 v33, v86, v33
	v_fma_f64 v[80:81], v[36:37], v[40:41], -v[72:73]
	v_fma_f64 v[82:83], v[40:41], v[38:39], v[42:43]
	ds_load_b128 v[36:39], v74 offset:1024
	ds_load_b128 v[40:43], v84 offset:32256
	ds_load_b128 v[72:75], v75 offset:512
	v_fma_f64 v[76:77], v[44:45], v[48:49], -v[76:77]
	v_fma_f64 v[84:85], v[46:47], v[48:49], v[50:51]
	s_wait_dscnt 0x3
	v_mul_f64_e32 v[48:49], v[66:67], v[70:71]
	v_mul_f64_e32 v[50:51], v[64:65], v[70:71]
	v_lshrrev_b32_e32 v44, 1, v92
	v_and_b32_e32 v45, 31, v92
	s_delay_alu instid0(VALU_DEP_2) | instskip(SKIP_1) | instid1(VALU_DEP_3)
	v_and_b32_e32 v44, 0x1f0, v44
	v_fma_f64 v[78:79], v[56:57], v[60:61], -v[78:79]
	v_lshl_add_u32 v45, v45, 4, 0
	v_fma_f64 v[60:61], v[58:59], v[60:61], v[62:63]
	s_delay_alu instid0(VALU_DEP_4)
	v_add_nc_u32_e32 v56, s0, v44
	ds_load_b128 v[44:47], v45 offset:32256
	s_wait_dscnt 0x1
	v_mul_f64_e32 v[70:71], v[42:43], v[74:75]
	v_mul_f64_e32 v[74:75], v[40:41], v[74:75]
	v_fma_f64 v[62:63], v[64:65], v[68:69], -v[48:49]
	v_fma_f64 v[64:65], v[66:67], v[68:69], v[50:51]
	ds_load_b128 v[48:51], v56 offset:512
	v_lshrrev_b32_e32 v56, 6, v86
	s_delay_alu instid0(VALU_DEP_1) | instskip(NEXT) | instid1(VALU_DEP_1)
	v_and_b32_e32 v56, 0x1f0, v56
	v_add_nc_u32_e32 v56, s0, v56
	v_fma_f64 v[68:69], v[40:41], v[72:73], -v[70:71]
	v_fma_f64 v[70:71], v[42:43], v[72:73], v[74:75]
	v_lshrrev_b32_e32 v42, 1, v86
	v_and_b32_e32 v43, 31, v86
	ds_load_b128 v[56:59], v56 offset:1024
	s_wait_dscnt 0x1
	v_mul_f64_e32 v[66:67], v[46:47], v[50:51]
	v_mul_f64_e32 v[40:41], v[44:45], v[50:51]
	v_and_b32_e32 v42, 0x1f0, v42
	v_lshl_add_u32 v43, v43, 4, 0
	v_and_b32_e32 v51, 31, v33
	s_delay_alu instid0(VALU_DEP_3) | instskip(NEXT) | instid1(VALU_DEP_2)
	v_add_nc_u32_e32 v50, s0, v42
	v_lshl_add_u32 v51, v51, 4, 0
	v_fma_f64 v[66:67], v[44:45], v[48:49], -v[66:67]
	v_fma_f64 v[72:73], v[46:47], v[48:49], v[40:41]
	ds_load_b128 v[40:43], v43 offset:32256
	ds_load_b128 v[44:47], v50 offset:512
	v_lshrrev_b32_e32 v50, 1, v33
	s_delay_alu instid0(VALU_DEP_1) | instskip(NEXT) | instid1(VALU_DEP_1)
	v_and_b32_e32 v50, 0x1f0, v50
	v_add_nc_u32_e32 v50, s0, v50
	s_wait_dscnt 0x0
	v_mul_f64_e32 v[48:49], v[42:43], v[46:47]
	v_mul_f64_e32 v[46:47], v[40:41], v[46:47]
	s_delay_alu instid0(VALU_DEP_2) | instskip(NEXT) | instid1(VALU_DEP_2)
	v_fma_f64 v[74:75], v[40:41], v[44:45], -v[48:49]
	v_fma_f64 v[86:87], v[42:43], v[44:45], v[46:47]
	ds_load_b128 v[40:43], v51 offset:32256
	ds_load_b128 v[44:47], v50 offset:512
	v_lshrrev_b32_e32 v48, 6, v88
	s_delay_alu instid0(VALU_DEP_1) | instskip(NEXT) | instid1(VALU_DEP_1)
	v_and_b32_e32 v48, 0x1f0, v48
	v_add_nc_u32_e32 v48, s0, v48
	ds_load_b128 v[48:51], v48 offset:1024
	s_wait_dscnt 0x1
	v_mul_f64_e32 v[88:89], v[42:43], v[46:47]
	s_delay_alu instid0(VALU_DEP_1) | instskip(SKIP_1) | instid1(VALU_DEP_1)
	v_fma_f64 v[88:89], v[40:41], v[44:45], -v[88:89]
	v_mul_f64_e32 v[40:41], v[40:41], v[46:47]
	v_fma_f64 v[44:45], v[42:43], v[44:45], v[40:41]
	v_mul_u32_u24_e32 v40, 7, v34
	s_delay_alu instid0(VALU_DEP_1) | instskip(SKIP_3) | instid1(VALU_DEP_1)
	v_lshlrev_b32_e32 v93, 4, v40
	global_load_b128 v[40:43], v93, s[24:25] offset:576
	s_wait_loadcnt 0x0
	v_mul_f64_e32 v[46:47], v[9:10], v[42:43]
	v_fma_f64 v[46:47], v[11:12], v[40:41], -v[46:47]
	v_mul_f64_e32 v[11:12], v[11:12], v[42:43]
	s_delay_alu instid0(VALU_DEP_1) | instskip(SKIP_4) | instid1(VALU_DEP_2)
	v_fma_f64 v[40:41], v[9:10], v[40:41], v[11:12]
	global_load_b128 v[9:12], v93, s[24:25] offset:640
	s_wait_loadcnt 0x0
	v_mul_f64_e32 v[42:43], v[25:26], v[11:12]
	v_mul_f64_e32 v[11:12], v[27:28], v[11:12]
	v_fma_f64 v[42:43], v[27:28], v[9:10], -v[42:43]
	s_delay_alu instid0(VALU_DEP_2) | instskip(SKIP_3) | instid1(VALU_DEP_2)
	v_fma_f64 v[25:26], v[25:26], v[9:10], v[11:12]
	global_load_b128 v[9:12], v93, s[24:25] offset:608
	v_add_f64_e64 v[42:43], v[46:47], -v[42:43]
	v_add_f64_e64 v[25:26], v[40:41], -v[25:26]
	v_fma_f64 v[46:47], v[46:47], 2.0, -v[42:43]
	s_delay_alu instid0(VALU_DEP_2) | instskip(SKIP_3) | instid1(VALU_DEP_2)
	v_fma_f64 v[40:41], v[40:41], 2.0, -v[25:26]
	s_wait_loadcnt 0x0
	v_mul_f64_e32 v[27:28], v[15:16], v[11:12]
	v_mul_f64_e32 v[11:12], v[13:14], v[11:12]
	v_fma_f64 v[27:28], v[13:14], v[9:10], v[27:28]
	s_delay_alu instid0(VALU_DEP_2) | instskip(SKIP_4) | instid1(VALU_DEP_2)
	v_fma_f64 v[13:14], v[15:16], v[9:10], -v[11:12]
	global_load_b128 v[9:12], v93, s[24:25] offset:672
	s_wait_loadcnt 0x0
	v_mul_f64_e32 v[15:16], v[31:32], v[11:12]
	v_mul_f64_e32 v[11:12], v[29:30], v[11:12]
	v_fma_f64 v[15:16], v[29:30], v[9:10], v[15:16]
	s_delay_alu instid0(VALU_DEP_2) | instskip(SKIP_3) | instid1(VALU_DEP_2)
	v_fma_f64 v[29:30], v[31:32], v[9:10], -v[11:12]
	global_load_b128 v[9:12], v93, s[24:25] offset:624
	v_add_f64_e64 v[15:16], v[27:28], -v[15:16]
	v_add_f64_e64 v[29:30], v[13:14], -v[29:30]
	v_fma_f64 v[27:28], v[27:28], 2.0, -v[15:16]
	v_add_f64_e64 v[15:16], v[42:43], -v[15:16]
	s_delay_alu instid0(VALU_DEP_3) | instskip(NEXT) | instid1(VALU_DEP_3)
	v_fma_f64 v[13:14], v[13:14], 2.0, -v[29:30]
	v_add_f64_e64 v[27:28], v[40:41], -v[27:28]
	s_delay_alu instid0(VALU_DEP_3) | instskip(NEXT) | instid1(VALU_DEP_3)
	v_fma_f64 v[42:43], v[42:43], 2.0, -v[15:16]
	v_add_f64_e64 v[13:14], v[46:47], -v[13:14]
	s_delay_alu instid0(VALU_DEP_3) | instskip(NEXT) | instid1(VALU_DEP_2)
	v_fma_f64 v[40:41], v[40:41], 2.0, -v[27:28]
	v_fma_f64 v[46:47], v[46:47], 2.0, -v[13:14]
	s_wait_loadcnt 0x0
	v_mul_f64_e32 v[31:32], v[17:18], v[11:12]
	v_mul_f64_e32 v[11:12], v[19:20], v[11:12]
	s_delay_alu instid0(VALU_DEP_2) | instskip(NEXT) | instid1(VALU_DEP_2)
	v_fma_f64 v[31:32], v[19:20], v[9:10], -v[31:32]
	v_fma_f64 v[17:18], v[17:18], v[9:10], v[11:12]
	global_load_b128 v[9:12], v93, s[24:25] offset:592
	v_add_f64_e64 v[31:32], v[3:4], -v[31:32]
	v_add_f64_e64 v[17:18], v[1:2], -v[17:18]
	s_wait_loadcnt 0x0
	v_mul_f64_e32 v[19:20], v[7:8], v[11:12]
	s_delay_alu instid0(VALU_DEP_1) | instskip(SKIP_1) | instid1(VALU_DEP_1)
	v_fma_f64 v[19:20], v[5:6], v[9:10], v[19:20]
	v_mul_f64_e32 v[5:6], v[5:6], v[11:12]
	v_fma_f64 v[9:10], v[7:8], v[9:10], -v[5:6]
	global_load_b128 v[5:8], v93, s[24:25] offset:656
	v_lshrrev_b32_e32 v93, 6, v91
	s_wait_loadcnt 0x0
	v_mul_f64_e32 v[11:12], v[23:24], v[7:8]
	v_mul_f64_e32 v[7:8], v[21:22], v[7:8]
	s_delay_alu instid0(VALU_DEP_2) | instskip(NEXT) | instid1(VALU_DEP_2)
	v_fma_f64 v[11:12], v[21:22], v[5:6], v[11:12]
	v_fma_f64 v[21:22], v[23:24], v[5:6], -v[7:8]
	s_wait_dscnt 0x0
	v_mul_f64_e32 v[5:6], v[50:51], v[82:83]
	v_mul_f64_e32 v[23:24], v[50:51], v[80:81]
	v_lshrrev_b32_e32 v7, 6, v90
	s_delay_alu instid0(VALU_DEP_1) | instskip(NEXT) | instid1(VALU_DEP_1)
	v_and_b32_e32 v7, 0x1f0, v7
	v_add_nc_u32_e32 v7, s0, v7
	v_add_f64_e64 v[11:12], v[19:20], -v[11:12]
	v_add_f64_e64 v[21:22], v[9:10], -v[21:22]
	v_fma_f64 v[50:51], v[48:49], v[80:81], -v[5:6]
	ds_load_b128 v[5:8], v7 offset:1024
	v_fma_f64 v[23:24], v[48:49], v[82:83], v[23:24]
	v_fma_f64 v[82:83], v[1:2], 2.0, -v[17:18]
	v_and_b32_e32 v1, 0x1f0, v93
	v_fma_f64 v[80:81], v[3:4], 2.0, -v[31:32]
	s_delay_alu instid0(VALU_DEP_2)
	v_add_nc_u32_e32 v1, s0, v1
	ds_load_b128 v[1:4], v1 offset:1024
	s_wait_dscnt 0x1
	v_mul_f64_e32 v[48:49], v[84:85], v[7:8]
	v_mul_f64_e32 v[7:8], v[76:77], v[7:8]
	v_add_f64_e64 v[90:91], v[31:32], -v[11:12]
	v_fma_f64 v[11:12], v[19:20], 2.0, -v[11:12]
	v_add_f64_e32 v[19:20], v[25:26], v[29:30]
	v_fma_f64 v[9:10], v[9:10], 2.0, -v[21:22]
	v_add_f64_e32 v[21:22], v[17:18], v[21:22]
	v_mul_f64_e32 v[29:30], v[60:61], v[54:55]
	v_fma_f64 v[48:49], v[5:6], v[76:77], -v[48:49]
	v_fma_f64 v[76:77], v[5:6], v[84:85], v[7:8]
	v_mul_f64_e32 v[5:6], v[78:79], v[54:55]
	s_wait_dscnt 0x0
	v_mul_f64_e32 v[7:8], v[64:65], v[3:4]
	v_mul_f64_e32 v[3:4], v[62:63], v[3:4]
	v_fma_f64 v[31:32], v[31:32], 2.0, -v[90:91]
	v_add_f64_e64 v[11:12], v[82:83], -v[11:12]
	v_fma_f64 v[25:26], v[25:26], 2.0, -v[19:20]
	v_add_f64_e64 v[9:10], v[80:81], -v[9:10]
	v_fma_f64 v[17:18], v[17:18], 2.0, -v[21:22]
	v_fma_f64 v[54:55], v[52:53], v[78:79], -v[29:30]
	v_fma_f64 v[29:30], v[52:53], v[60:61], v[5:6]
	v_lshrrev_b32_e32 v5, 6, v92
	v_fma_f64 v[52:53], v[15:16], s[8:9], v[90:91]
	v_fma_f64 v[60:61], v[19:20], s[8:9], v[21:22]
	v_lshrrev_b32_e32 v6, 6, v33
	v_fma_f64 v[62:63], v[1:2], v[62:63], -v[7:8]
	v_and_b32_e32 v5, 0x1f0, v5
	v_fma_f64 v[64:65], v[1:2], v[64:65], v[3:4]
	s_delay_alu instid0(VALU_DEP_4) | instskip(NEXT) | instid1(VALU_DEP_3)
	v_and_b32_e32 v6, 0x1f0, v6
	v_add_nc_u32_e32 v5, s0, v5
	s_wait_alu 0xfffe
	v_fma_f64 v[78:79], v[42:43], s[10:11], v[31:32]
	v_fma_f64 v[82:83], v[82:83], 2.0, -v[11:12]
	v_add_f64_e32 v[92:93], v[11:12], v[13:14]
	v_fma_f64 v[80:81], v[80:81], 2.0, -v[9:10]
	v_fma_f64 v[84:85], v[25:26], s[10:11], v[17:18]
	ds_load_b128 v[1:4], v5 offset:1024
	v_add_nc_u32_e32 v5, s0, v6
	v_add_f64_e64 v[27:28], v[9:10], -v[27:28]
	s_mul_i32 s0, s6, s4
	s_wait_alu 0xfffe
	s_add_co_i32 s0, s0, s2
	ds_load_b128 v[5:8], v5 offset:1024
	s_wait_alu 0xfffe
	v_add3_u32 v35, v98, v0, s0
	v_fma_f64 v[19:20], v[19:20], s[10:11], v[52:53]
	v_mul_f64_e32 v[52:53], v[68:69], v[38:39]
	v_fma_f64 v[15:16], v[15:16], s[8:9], v[60:61]
	s_wait_dscnt 0x1
	v_mul_f64_e32 v[60:61], v[66:67], v[3:4]
	v_mul_f64_e32 v[38:39], v[70:71], v[38:39]
	;; [unrolled: 1-line block ×3, first 2 shown]
	v_fma_f64 v[25:26], v[25:26], s[10:11], v[78:79]
	v_mul_f64_e32 v[78:79], v[74:75], v[58:59]
	v_add_f64_e64 v[40:41], v[82:83], -v[40:41]
	v_add_f64_e64 v[13:14], v[80:81], -v[46:47]
	v_fma_f64 v[42:43], v[42:43], s[8:9], v[84:85]
	s_wait_dscnt 0x0
	v_mul_f64_e32 v[84:85], v[88:89], v[7:8]
	v_mul_f64_e32 v[58:59], v[86:87], v[58:59]
	;; [unrolled: 1-line block ×3, first 2 shown]
	v_fma_f64 v[46:47], v[36:37], v[70:71], v[52:53]
	v_fma_f64 v[52:53], v[1:2], v[72:73], v[60:61]
	v_fma_f64 v[72:73], v[11:12], 2.0, -v[92:93]
	v_mul_f64_e32 v[11:12], v[19:20], v[76:77]
	v_fma_f64 v[33:34], v[36:37], v[68:69], -v[38:39]
	v_add_nc_u32_e32 v39, 42, v94
	v_add_nc_u32_e32 v68, 0x54, v94
	v_fma_f64 v[37:38], v[1:2], v[66:67], -v[3:4]
	v_mov_b32_e32 v36, 0
	v_fma_f64 v[31:32], v[31:32], 2.0, -v[25:26]
	v_fma_f64 v[60:61], v[56:57], v[86:87], v[78:79]
	v_fma_f64 v[82:83], v[82:83], 2.0, -v[40:41]
	v_fma_f64 v[80:81], v[80:81], 2.0, -v[13:14]
	;; [unrolled: 1-line block ×3, first 2 shown]
	v_fma_f64 v[70:71], v[5:6], v[44:45], v[84:85]
	v_fma_f64 v[44:45], v[21:22], 2.0, -v[15:16]
	v_fma_f64 v[21:22], v[9:10], 2.0, -v[27:28]
	;; [unrolled: 1-line block ×3, first 2 shown]
	v_mul_f64_e32 v[9:10], v[15:16], v[76:77]
	v_fma_f64 v[56:57], v[56:57], v[74:75], -v[58:59]
	v_fma_f64 v[4:5], v[5:6], v[88:89], -v[7:8]
	v_mul_f64_e32 v[6:7], v[92:93], v[29:30]
	v_mul_f64_e32 v[58:59], v[42:43], v[64:65]
	v_mul_lo_u32 v3, s16, v39
	v_mul_lo_u32 v39, s16, v68
	v_mul_f64_e32 v[64:65], v[25:26], v[64:65]
	v_mul_f64_e32 v[88:89], v[27:28], v[29:30]
	v_lshlrev_b64_e32 v[0:1], 4, v[35:36]
	v_mul_lo_u32 v8, s16, v95
	v_add_nc_u32_e32 v2, 0xd2, v94
	v_mul_lo_u32 v29, s16, v96
	v_add3_u32 v35, v98, v3, s0
	v_add_co_u32 v90, vcc_lo, s14, v0
	s_wait_alu 0xfffd
	v_add_co_ci_u32_e32 v91, vcc_lo, s15, v1, vcc_lo
	v_mul_f64_e32 v[66:67], v[40:41], v[46:47]
	v_mul_f64_e32 v[46:47], v[13:14], v[46:47]
	v_add_nc_u32_e32 v0, 0xfc, v94
	v_add_nc_u32_e32 v1, 0x126, v94
	s_delay_alu instid0(VALU_DEP_2) | instskip(NEXT) | instid1(VALU_DEP_2)
	v_mul_lo_u32 v99, s16, v0
	v_mul_lo_u32 v100, s16, v1
	v_fma_f64 v[0:1], v[15:16], v[48:49], v[11:12]
	v_mul_f64_e32 v[74:75], v[72:73], v[60:61]
	v_mul_f64_e32 v[84:85], v[82:83], v[23:24]
	;; [unrolled: 1-line block ×3, first 2 shown]
	v_lshlrev_b64_e32 v[23:24], 4, v[35:36]
	v_mul_f64_e32 v[76:77], v[70:71], v[78:79]
	v_mul_f64_e32 v[70:71], v[70:71], v[31:32]
	;; [unrolled: 1-line block ×5, first 2 shown]
	v_add3_u32 v35, v98, v39, s0
	v_mul_lo_u32 v39, s16, v2
	v_fma_f64 v[2:3], v[19:20], v[48:49], -v[9:10]
	v_add_co_u32 v94, vcc_lo, s14, v23
	s_delay_alu instid0(VALU_DEP_4)
	v_lshlrev_b64_e32 v[48:49], 4, v[35:36]
	v_add3_u32 v35, v98, v8, s0
	v_fma_f64 v[6:7], v[27:28], v[54:55], -v[6:7]
	v_fma_f64 v[10:11], v[25:26], v[62:63], -v[58:59]
	s_wait_alu 0xfffd
	v_add_co_ci_u32_e32 v95, vcc_lo, s15, v24, vcc_lo
	v_lshlrev_b64_e32 v[96:97], 4, v[35:36]
	v_add3_u32 v35, v98, v29, s0
	v_fma_f64 v[8:9], v[42:43], v[62:63], v[64:65]
	v_fma_f64 v[14:15], v[13:14], v[33:34], -v[66:67]
	v_fma_f64 v[12:13], v[40:41], v[33:34], v[46:47]
	v_fma_f64 v[22:23], v[21:22], v[56:57], -v[74:75]
	;; [unrolled: 2-line block ×3, first 2 shown]
	v_fma_f64 v[30:31], v[80:81], v[50:51], -v[84:85]
	v_fma_f64 v[24:25], v[4:5], v[78:79], v[70:71]
	v_fma_f64 v[20:21], v[72:73], v[56:57], v[60:61]
	v_fma_f64 v[18:19], v[17:18], v[37:38], -v[68:69]
	v_fma_f64 v[16:17], v[44:45], v[37:38], v[52:53]
	v_fma_f64 v[4:5], v[92:93], v[54:55], v[88:89]
	v_lshlrev_b64_e32 v[37:38], 4, v[35:36]
	v_add3_u32 v35, v98, v39, s0
	v_add_co_u32 v32, vcc_lo, s14, v48
	s_wait_alu 0xfffd
	v_add_co_ci_u32_e32 v33, vcc_lo, s15, v49, vcc_lo
	s_delay_alu instid0(VALU_DEP_3) | instskip(SKIP_4) | instid1(VALU_DEP_3)
	v_lshlrev_b64_e32 v[41:42], 4, v[35:36]
	v_add3_u32 v35, v98, v99, s0
	v_add_co_u32 v39, vcc_lo, s14, v96
	s_wait_alu 0xfffd
	v_add_co_ci_u32_e32 v40, vcc_lo, s15, v97, vcc_lo
	v_lshlrev_b64_e32 v[43:44], 4, v[35:36]
	v_add3_u32 v35, v98, v100, s0
	v_add_co_u32 v37, vcc_lo, s14, v37
	s_wait_alu 0xfffd
	v_add_co_ci_u32_e32 v38, vcc_lo, s15, v38, vcc_lo
	v_add_co_u32 v41, vcc_lo, s14, v41
	v_lshlrev_b64_e32 v[34:35], 4, v[35:36]
	s_wait_alu 0xfffd
	v_add_co_ci_u32_e32 v42, vcc_lo, s15, v42, vcc_lo
	v_add_co_u32 v43, vcc_lo, s14, v43
	s_wait_alu 0xfffd
	v_add_co_ci_u32_e32 v44, vcc_lo, s15, v44, vcc_lo
	v_add_co_u32 v34, vcc_lo, s14, v34
	s_wait_alu 0xfffd
	v_add_co_ci_u32_e32 v35, vcc_lo, s15, v35, vcc_lo
	s_clause 0x7
	global_store_b128 v[90:91], v[28:31], off
	global_store_b128 v[94:95], v[24:27], off
	;; [unrolled: 1-line block ×8, first 2 shown]
.LBB0_34:
	s_nop 0
	s_sendmsg sendmsg(MSG_DEALLOC_VGPRS)
	s_endpgm
	.section	.rodata,"a",@progbits
	.p2align	6, 0x0
	.amdhsa_kernel fft_rtc_back_len336_factors_6_7_8_wgs_336_tpt_56_dp_op_CI_CI_sbcc_twdbase5_3step_dirReg_intrinsicReadWrite
		.amdhsa_group_segment_fixed_size 0
		.amdhsa_private_segment_fixed_size 0
		.amdhsa_kernarg_size 112
		.amdhsa_user_sgpr_count 2
		.amdhsa_user_sgpr_dispatch_ptr 0
		.amdhsa_user_sgpr_queue_ptr 0
		.amdhsa_user_sgpr_kernarg_segment_ptr 1
		.amdhsa_user_sgpr_dispatch_id 0
		.amdhsa_user_sgpr_private_segment_size 0
		.amdhsa_wavefront_size32 1
		.amdhsa_uses_dynamic_stack 0
		.amdhsa_enable_private_segment 0
		.amdhsa_system_sgpr_workgroup_id_x 1
		.amdhsa_system_sgpr_workgroup_id_y 0
		.amdhsa_system_sgpr_workgroup_id_z 0
		.amdhsa_system_sgpr_workgroup_info 0
		.amdhsa_system_vgpr_workitem_id 0
		.amdhsa_next_free_vgpr 101
		.amdhsa_next_free_sgpr 60
		.amdhsa_reserve_vcc 1
		.amdhsa_float_round_mode_32 0
		.amdhsa_float_round_mode_16_64 0
		.amdhsa_float_denorm_mode_32 3
		.amdhsa_float_denorm_mode_16_64 3
		.amdhsa_fp16_overflow 0
		.amdhsa_workgroup_processor_mode 1
		.amdhsa_memory_ordered 1
		.amdhsa_forward_progress 0
		.amdhsa_round_robin_scheduling 0
		.amdhsa_exception_fp_ieee_invalid_op 0
		.amdhsa_exception_fp_denorm_src 0
		.amdhsa_exception_fp_ieee_div_zero 0
		.amdhsa_exception_fp_ieee_overflow 0
		.amdhsa_exception_fp_ieee_underflow 0
		.amdhsa_exception_fp_ieee_inexact 0
		.amdhsa_exception_int_div_zero 0
	.end_amdhsa_kernel
	.text
.Lfunc_end0:
	.size	fft_rtc_back_len336_factors_6_7_8_wgs_336_tpt_56_dp_op_CI_CI_sbcc_twdbase5_3step_dirReg_intrinsicReadWrite, .Lfunc_end0-fft_rtc_back_len336_factors_6_7_8_wgs_336_tpt_56_dp_op_CI_CI_sbcc_twdbase5_3step_dirReg_intrinsicReadWrite
                                        ; -- End function
	.section	.AMDGPU.csdata,"",@progbits
; Kernel info:
; codeLenInByte = 6952
; NumSgprs: 62
; NumVgprs: 101
; ScratchSize: 0
; MemoryBound: 0
; FloatMode: 240
; IeeeMode: 1
; LDSByteSize: 0 bytes/workgroup (compile time only)
; SGPRBlocks: 7
; VGPRBlocks: 12
; NumSGPRsForWavesPerEU: 62
; NumVGPRsForWavesPerEU: 101
; Occupancy: 12
; WaveLimiterHint : 1
; COMPUTE_PGM_RSRC2:SCRATCH_EN: 0
; COMPUTE_PGM_RSRC2:USER_SGPR: 2
; COMPUTE_PGM_RSRC2:TRAP_HANDLER: 0
; COMPUTE_PGM_RSRC2:TGID_X_EN: 1
; COMPUTE_PGM_RSRC2:TGID_Y_EN: 0
; COMPUTE_PGM_RSRC2:TGID_Z_EN: 0
; COMPUTE_PGM_RSRC2:TIDIG_COMP_CNT: 0
	.text
	.p2alignl 7, 3214868480
	.fill 96, 4, 3214868480
	.type	__hip_cuid_a00bf377cae4f68e,@object ; @__hip_cuid_a00bf377cae4f68e
	.section	.bss,"aw",@nobits
	.globl	__hip_cuid_a00bf377cae4f68e
__hip_cuid_a00bf377cae4f68e:
	.byte	0                               ; 0x0
	.size	__hip_cuid_a00bf377cae4f68e, 1

	.ident	"AMD clang version 19.0.0git (https://github.com/RadeonOpenCompute/llvm-project roc-6.4.0 25133 c7fe45cf4b819c5991fe208aaa96edf142730f1d)"
	.section	".note.GNU-stack","",@progbits
	.addrsig
	.addrsig_sym __hip_cuid_a00bf377cae4f68e
	.amdgpu_metadata
---
amdhsa.kernels:
  - .args:
      - .actual_access:  read_only
        .address_space:  global
        .offset:         0
        .size:           8
        .value_kind:     global_buffer
      - .address_space:  global
        .offset:         8
        .size:           8
        .value_kind:     global_buffer
      - .offset:         16
        .size:           8
        .value_kind:     by_value
      - .actual_access:  read_only
        .address_space:  global
        .offset:         24
        .size:           8
        .value_kind:     global_buffer
      - .actual_access:  read_only
        .address_space:  global
        .offset:         32
        .size:           8
        .value_kind:     global_buffer
      - .actual_access:  read_only
        .address_space:  global
        .offset:         40
        .size:           8
        .value_kind:     global_buffer
      - .offset:         48
        .size:           8
        .value_kind:     by_value
      - .actual_access:  read_only
        .address_space:  global
        .offset:         56
        .size:           8
        .value_kind:     global_buffer
      - .actual_access:  read_only
        .address_space:  global
        .offset:         64
        .size:           8
        .value_kind:     global_buffer
      - .offset:         72
        .size:           4
        .value_kind:     by_value
      - .actual_access:  read_only
        .address_space:  global
        .offset:         80
        .size:           8
        .value_kind:     global_buffer
      - .actual_access:  read_only
        .address_space:  global
        .offset:         88
        .size:           8
        .value_kind:     global_buffer
      - .actual_access:  read_only
        .address_space:  global
        .offset:         96
        .size:           8
        .value_kind:     global_buffer
      - .actual_access:  write_only
        .address_space:  global
        .offset:         104
        .size:           8
        .value_kind:     global_buffer
    .group_segment_fixed_size: 0
    .kernarg_segment_align: 8
    .kernarg_segment_size: 112
    .language:       OpenCL C
    .language_version:
      - 2
      - 0
    .max_flat_workgroup_size: 336
    .name:           fft_rtc_back_len336_factors_6_7_8_wgs_336_tpt_56_dp_op_CI_CI_sbcc_twdbase5_3step_dirReg_intrinsicReadWrite
    .private_segment_fixed_size: 0
    .sgpr_count:     62
    .sgpr_spill_count: 0
    .symbol:         fft_rtc_back_len336_factors_6_7_8_wgs_336_tpt_56_dp_op_CI_CI_sbcc_twdbase5_3step_dirReg_intrinsicReadWrite.kd
    .uniform_work_group_size: 1
    .uses_dynamic_stack: false
    .vgpr_count:     101
    .vgpr_spill_count: 0
    .wavefront_size: 32
    .workgroup_processor_mode: 1
amdhsa.target:   amdgcn-amd-amdhsa--gfx1201
amdhsa.version:
  - 1
  - 2
...

	.end_amdgpu_metadata
